;; amdgpu-corpus repo=ROCm/rocFFT kind=compiled arch=gfx1030 opt=O3
	.text
	.amdgcn_target "amdgcn-amd-amdhsa--gfx1030"
	.amdhsa_code_object_version 6
	.protected	fft_rtc_back_len832_factors_13_2_2_2_2_2_2_wgs_104_tpt_104_halfLds_sp_ip_CI_unitstride_sbrr_dirReg ; -- Begin function fft_rtc_back_len832_factors_13_2_2_2_2_2_2_wgs_104_tpt_104_halfLds_sp_ip_CI_unitstride_sbrr_dirReg
	.globl	fft_rtc_back_len832_factors_13_2_2_2_2_2_2_wgs_104_tpt_104_halfLds_sp_ip_CI_unitstride_sbrr_dirReg
	.p2align	8
	.type	fft_rtc_back_len832_factors_13_2_2_2_2_2_2_wgs_104_tpt_104_halfLds_sp_ip_CI_unitstride_sbrr_dirReg,@function
fft_rtc_back_len832_factors_13_2_2_2_2_2_2_wgs_104_tpt_104_halfLds_sp_ip_CI_unitstride_sbrr_dirReg: ; @fft_rtc_back_len832_factors_13_2_2_2_2_2_2_wgs_104_tpt_104_halfLds_sp_ip_CI_unitstride_sbrr_dirReg
; %bb.0:
	s_clause 0x2
	s_load_dwordx4 s[8:11], s[4:5], 0x0
	s_load_dwordx2 s[2:3], s[4:5], 0x50
	s_load_dwordx2 s[12:13], s[4:5], 0x18
	v_mul_u32_u24_e32 v1, 0x277, v0
	v_mov_b32_e32 v3, 0
	v_add_nc_u32_sdwa v5, s6, v1 dst_sel:DWORD dst_unused:UNUSED_PAD src0_sel:DWORD src1_sel:WORD_1
	v_mov_b32_e32 v1, 0
	v_mov_b32_e32 v6, v3
	v_mov_b32_e32 v2, 0
	s_waitcnt lgkmcnt(0)
	v_cmp_lt_u64_e64 s0, s[10:11], 2
	s_and_b32 vcc_lo, exec_lo, s0
	s_cbranch_vccnz .LBB0_8
; %bb.1:
	s_load_dwordx2 s[0:1], s[4:5], 0x10
	v_mov_b32_e32 v1, 0
	s_add_u32 s6, s12, 8
	v_mov_b32_e32 v2, 0
	s_addc_u32 s7, s13, 0
	s_mov_b64 s[16:17], 1
	s_waitcnt lgkmcnt(0)
	s_add_u32 s14, s0, 8
	s_addc_u32 s15, s1, 0
.LBB0_2:                                ; =>This Inner Loop Header: Depth=1
	s_load_dwordx2 s[18:19], s[14:15], 0x0
                                        ; implicit-def: $vgpr7_vgpr8
	s_mov_b32 s0, exec_lo
	s_waitcnt lgkmcnt(0)
	v_or_b32_e32 v4, s19, v6
	v_cmpx_ne_u64_e32 0, v[3:4]
	s_xor_b32 s1, exec_lo, s0
	s_cbranch_execz .LBB0_4
; %bb.3:                                ;   in Loop: Header=BB0_2 Depth=1
	v_cvt_f32_u32_e32 v4, s18
	v_cvt_f32_u32_e32 v7, s19
	s_sub_u32 s0, 0, s18
	s_subb_u32 s20, 0, s19
	v_fmac_f32_e32 v4, 0x4f800000, v7
	v_rcp_f32_e32 v4, v4
	v_mul_f32_e32 v4, 0x5f7ffffc, v4
	v_mul_f32_e32 v7, 0x2f800000, v4
	v_trunc_f32_e32 v7, v7
	v_fmac_f32_e32 v4, 0xcf800000, v7
	v_cvt_u32_f32_e32 v7, v7
	v_cvt_u32_f32_e32 v4, v4
	v_mul_lo_u32 v8, s0, v7
	v_mul_hi_u32 v9, s0, v4
	v_mul_lo_u32 v10, s20, v4
	v_add_nc_u32_e32 v8, v9, v8
	v_mul_lo_u32 v9, s0, v4
	v_add_nc_u32_e32 v8, v8, v10
	v_mul_hi_u32 v10, v4, v9
	v_mul_lo_u32 v11, v4, v8
	v_mul_hi_u32 v12, v4, v8
	v_mul_hi_u32 v13, v7, v9
	v_mul_lo_u32 v9, v7, v9
	v_mul_hi_u32 v14, v7, v8
	v_mul_lo_u32 v8, v7, v8
	v_add_co_u32 v10, vcc_lo, v10, v11
	v_add_co_ci_u32_e32 v11, vcc_lo, 0, v12, vcc_lo
	v_add_co_u32 v9, vcc_lo, v10, v9
	v_add_co_ci_u32_e32 v9, vcc_lo, v11, v13, vcc_lo
	v_add_co_ci_u32_e32 v10, vcc_lo, 0, v14, vcc_lo
	v_add_co_u32 v8, vcc_lo, v9, v8
	v_add_co_ci_u32_e32 v9, vcc_lo, 0, v10, vcc_lo
	v_add_co_u32 v4, vcc_lo, v4, v8
	v_add_co_ci_u32_e32 v7, vcc_lo, v7, v9, vcc_lo
	v_mul_hi_u32 v8, s0, v4
	v_mul_lo_u32 v10, s20, v4
	v_mul_lo_u32 v9, s0, v7
	v_add_nc_u32_e32 v8, v8, v9
	v_mul_lo_u32 v9, s0, v4
	v_add_nc_u32_e32 v8, v8, v10
	v_mul_hi_u32 v10, v4, v9
	v_mul_lo_u32 v11, v4, v8
	v_mul_hi_u32 v12, v4, v8
	v_mul_hi_u32 v13, v7, v9
	v_mul_lo_u32 v9, v7, v9
	v_mul_hi_u32 v14, v7, v8
	v_mul_lo_u32 v8, v7, v8
	v_add_co_u32 v10, vcc_lo, v10, v11
	v_add_co_ci_u32_e32 v11, vcc_lo, 0, v12, vcc_lo
	v_add_co_u32 v9, vcc_lo, v10, v9
	v_add_co_ci_u32_e32 v9, vcc_lo, v11, v13, vcc_lo
	v_add_co_ci_u32_e32 v10, vcc_lo, 0, v14, vcc_lo
	v_add_co_u32 v8, vcc_lo, v9, v8
	v_add_co_ci_u32_e32 v9, vcc_lo, 0, v10, vcc_lo
	v_add_co_u32 v4, vcc_lo, v4, v8
	v_add_co_ci_u32_e32 v11, vcc_lo, v7, v9, vcc_lo
	v_mul_hi_u32 v13, v5, v4
	v_mad_u64_u32 v[9:10], null, v6, v4, 0
	v_mad_u64_u32 v[7:8], null, v5, v11, 0
	;; [unrolled: 1-line block ×3, first 2 shown]
	v_add_co_u32 v4, vcc_lo, v13, v7
	v_add_co_ci_u32_e32 v7, vcc_lo, 0, v8, vcc_lo
	v_add_co_u32 v4, vcc_lo, v4, v9
	v_add_co_ci_u32_e32 v4, vcc_lo, v7, v10, vcc_lo
	v_add_co_ci_u32_e32 v7, vcc_lo, 0, v12, vcc_lo
	v_add_co_u32 v4, vcc_lo, v4, v11
	v_add_co_ci_u32_e32 v9, vcc_lo, 0, v7, vcc_lo
	v_mul_lo_u32 v10, s19, v4
	v_mad_u64_u32 v[7:8], null, s18, v4, 0
	v_mul_lo_u32 v11, s18, v9
	v_sub_co_u32 v7, vcc_lo, v5, v7
	v_add3_u32 v8, v8, v11, v10
	v_sub_nc_u32_e32 v10, v6, v8
	v_subrev_co_ci_u32_e64 v10, s0, s19, v10, vcc_lo
	v_add_co_u32 v11, s0, v4, 2
	v_add_co_ci_u32_e64 v12, s0, 0, v9, s0
	v_sub_co_u32 v13, s0, v7, s18
	v_sub_co_ci_u32_e32 v8, vcc_lo, v6, v8, vcc_lo
	v_subrev_co_ci_u32_e64 v10, s0, 0, v10, s0
	v_cmp_le_u32_e32 vcc_lo, s18, v13
	v_cmp_eq_u32_e64 s0, s19, v8
	v_cndmask_b32_e64 v13, 0, -1, vcc_lo
	v_cmp_le_u32_e32 vcc_lo, s19, v10
	v_cndmask_b32_e64 v14, 0, -1, vcc_lo
	v_cmp_le_u32_e32 vcc_lo, s18, v7
	;; [unrolled: 2-line block ×3, first 2 shown]
	v_cndmask_b32_e64 v15, 0, -1, vcc_lo
	v_cmp_eq_u32_e32 vcc_lo, s19, v10
	v_cndmask_b32_e64 v7, v15, v7, s0
	v_cndmask_b32_e32 v10, v14, v13, vcc_lo
	v_add_co_u32 v13, vcc_lo, v4, 1
	v_add_co_ci_u32_e32 v14, vcc_lo, 0, v9, vcc_lo
	v_cmp_ne_u32_e32 vcc_lo, 0, v10
	v_cndmask_b32_e32 v8, v14, v12, vcc_lo
	v_cndmask_b32_e32 v10, v13, v11, vcc_lo
	v_cmp_ne_u32_e32 vcc_lo, 0, v7
	v_cndmask_b32_e32 v8, v9, v8, vcc_lo
	v_cndmask_b32_e32 v7, v4, v10, vcc_lo
.LBB0_4:                                ;   in Loop: Header=BB0_2 Depth=1
	s_andn2_saveexec_b32 s0, s1
	s_cbranch_execz .LBB0_6
; %bb.5:                                ;   in Loop: Header=BB0_2 Depth=1
	v_cvt_f32_u32_e32 v4, s18
	s_sub_i32 s1, 0, s18
	v_rcp_iflag_f32_e32 v4, v4
	v_mul_f32_e32 v4, 0x4f7ffffe, v4
	v_cvt_u32_f32_e32 v4, v4
	v_mul_lo_u32 v7, s1, v4
	v_mul_hi_u32 v7, v4, v7
	v_add_nc_u32_e32 v4, v4, v7
	v_mul_hi_u32 v4, v5, v4
	v_mul_lo_u32 v7, v4, s18
	v_add_nc_u32_e32 v8, 1, v4
	v_sub_nc_u32_e32 v7, v5, v7
	v_subrev_nc_u32_e32 v9, s18, v7
	v_cmp_le_u32_e32 vcc_lo, s18, v7
	v_cndmask_b32_e32 v7, v7, v9, vcc_lo
	v_cndmask_b32_e32 v4, v4, v8, vcc_lo
	v_cmp_le_u32_e32 vcc_lo, s18, v7
	v_add_nc_u32_e32 v8, 1, v4
	v_cndmask_b32_e32 v7, v4, v8, vcc_lo
	v_mov_b32_e32 v8, v3
.LBB0_6:                                ;   in Loop: Header=BB0_2 Depth=1
	s_or_b32 exec_lo, exec_lo, s0
	s_load_dwordx2 s[0:1], s[6:7], 0x0
	v_mul_lo_u32 v4, v8, s18
	v_mul_lo_u32 v11, v7, s19
	v_mad_u64_u32 v[9:10], null, v7, s18, 0
	s_add_u32 s16, s16, 1
	s_addc_u32 s17, s17, 0
	s_add_u32 s6, s6, 8
	s_addc_u32 s7, s7, 0
	;; [unrolled: 2-line block ×3, first 2 shown]
	v_add3_u32 v4, v10, v11, v4
	v_sub_co_u32 v5, vcc_lo, v5, v9
	v_sub_co_ci_u32_e32 v4, vcc_lo, v6, v4, vcc_lo
	s_waitcnt lgkmcnt(0)
	v_mul_lo_u32 v6, s1, v5
	v_mul_lo_u32 v4, s0, v4
	v_mad_u64_u32 v[1:2], null, s0, v5, v[1:2]
	v_cmp_ge_u64_e64 s0, s[16:17], s[10:11]
	s_and_b32 vcc_lo, exec_lo, s0
	v_add3_u32 v2, v6, v2, v4
	s_cbranch_vccnz .LBB0_9
; %bb.7:                                ;   in Loop: Header=BB0_2 Depth=1
	v_mov_b32_e32 v5, v7
	v_mov_b32_e32 v6, v8
	s_branch .LBB0_2
.LBB0_8:
	v_mov_b32_e32 v8, v6
	v_mov_b32_e32 v7, v5
.LBB0_9:
	s_lshl_b64 s[0:1], s[10:11], 3
	v_mul_hi_u32 v5, 0x2762763, v0
	s_add_u32 s0, s12, s0
	s_addc_u32 s1, s13, s1
	v_mov_b32_e32 v17, 0
	s_load_dwordx2 s[0:1], s[0:1], 0x0
	s_load_dwordx2 s[4:5], s[4:5], 0x20
	v_mov_b32_e32 v16, 0
                                        ; implicit-def: $vgpr29
                                        ; implicit-def: $vgpr21
                                        ; implicit-def: $vgpr15
                                        ; implicit-def: $vgpr11
                                        ; implicit-def: $vgpr35
                                        ; implicit-def: $vgpr37
                                        ; implicit-def: $vgpr23
                                        ; implicit-def: $vgpr19
                                        ; implicit-def: $vgpr13
	s_waitcnt lgkmcnt(0)
	v_mul_lo_u32 v6, s0, v8
	v_mul_lo_u32 v9, s1, v7
	v_mad_u64_u32 v[3:4], null, s0, v7, v[1:2]
	v_mul_u32_u24_e32 v1, 0x68, v5
	v_cmp_gt_u64_e32 vcc_lo, s[4:5], v[7:8]
                                        ; implicit-def: $vgpr5
                                        ; implicit-def: $vgpr7
	v_sub_nc_u32_e32 v2, v0, v1
	v_add3_u32 v4, v9, v4, v6
                                        ; implicit-def: $vgpr9
	v_cmp_gt_u32_e64 s0, 64, v2
	v_lshlrev_b64 v[0:1], 3, v[3:4]
	s_and_b32 s1, vcc_lo, s0
	s_and_saveexec_b32 s4, s1
	s_cbranch_execz .LBB0_11
; %bb.10:
	v_mov_b32_e32 v3, 0
	v_add_co_u32 v32, s1, s2, v0
	v_add_co_ci_u32_e64 v33, s1, s3, v1, s1
	v_lshlrev_b64 v[4:5], 3, v[2:3]
	v_or_b32_e32 v6, 0x100, v2
	v_mov_b32_e32 v7, v3
	v_or_b32_e32 v8, 0x140, v2
	v_mov_b32_e32 v9, v3
	v_or_b32_e32 v10, 0x1c0, v2
	v_add_co_u32 v4, s1, v32, v4
	v_add_co_ci_u32_e64 v5, s1, v33, v5, s1
	v_lshlrev_b64 v[6:7], 3, v[6:7]
	v_mov_b32_e32 v11, v3
	v_or_b32_e32 v24, 0x240, v2
	s_clause 0x3
	global_load_dwordx2 v[16:17], v[4:5], off
	global_load_dwordx2 v[28:29], v[4:5], off offset:512
	global_load_dwordx2 v[20:21], v[4:5], off offset:1024
	;; [unrolled: 1-line block ×3, first 2 shown]
	v_lshlrev_b64 v[4:5], 3, v[8:9]
	v_or_b32_e32 v8, 0x180, v2
	v_add_co_u32 v6, s1, v32, v6
	v_add_co_ci_u32_e64 v7, s1, v33, v7, s1
	v_lshlrev_b64 v[8:9], 3, v[8:9]
	v_add_co_u32 v4, s1, v32, v4
	v_add_co_ci_u32_e64 v5, s1, v33, v5, s1
	v_lshlrev_b64 v[10:11], 3, v[10:11]
	v_add_co_u32 v12, s1, v32, v8
	v_add_co_ci_u32_e64 v13, s1, v33, v9, s1
	v_or_b32_e32 v8, 0x200, v2
	v_mov_b32_e32 v9, v3
	v_mov_b32_e32 v25, v3
	v_add_co_u32 v18, s1, v32, v10
	v_add_co_ci_u32_e64 v19, s1, v33, v11, s1
	v_lshlrev_b64 v[22:23], 3, v[8:9]
	s_clause 0x3
	global_load_dwordx2 v[10:11], v[6:7], off
	global_load_dwordx2 v[8:9], v[4:5], off
	;; [unrolled: 1-line block ×4, first 2 shown]
	v_lshlrev_b64 v[12:13], 3, v[24:25]
	v_or_b32_e32 v18, 0x280, v2
	v_mov_b32_e32 v19, v3
	v_or_b32_e32 v24, 0x2c0, v2
	v_add_co_u32 v22, s1, v32, v22
	v_add_co_ci_u32_e64 v23, s1, v33, v23, s1
	v_lshlrev_b64 v[18:19], 3, v[18:19]
	v_add_co_u32 v26, s1, v32, v12
	v_add_co_ci_u32_e64 v27, s1, v33, v13, s1
	v_lshlrev_b64 v[12:13], 3, v[24:25]
	v_or_b32_e32 v24, 0x300, v2
	v_add_co_u32 v30, s1, v32, v18
	v_add_co_ci_u32_e64 v31, s1, v33, v19, s1
	v_lshlrev_b64 v[18:19], 3, v[24:25]
	v_add_co_u32 v24, s1, v32, v12
	v_add_co_ci_u32_e64 v25, s1, v33, v13, s1
	v_add_co_u32 v32, s1, v32, v18
	v_add_co_ci_u32_e64 v33, s1, v33, v19, s1
	s_clause 0x4
	global_load_dwordx2 v[12:13], v[22:23], off
	global_load_dwordx2 v[18:19], v[26:27], off
	;; [unrolled: 1-line block ×5, first 2 shown]
.LBB0_11:
	s_or_b32 exec_lo, exec_lo, s4
	s_and_saveexec_b32 s1, s0
	s_cbranch_execz .LBB0_13
; %bb.12:
	s_waitcnt vmcnt(0)
	v_add_f32_e32 v3, v28, v34
	v_sub_f32_e32 v24, v29, v35
	v_add_f32_e32 v25, v20, v36
	v_sub_f32_e32 v26, v21, v37
	v_add_f32_e32 v27, v14, v22
	v_mul_f32_e32 v30, 0xbf788fa5, v3
	v_sub_f32_e32 v31, v15, v23
	v_mul_f32_e32 v38, 0x3f62ad3f, v25
	v_add_f32_e32 v32, v10, v18
	v_mul_f32_e32 v42, 0xbf3f9e67, v27
	v_fmamk_f32 v39, v24, 0x3e750f2a, v30
	v_sub_f32_e32 v33, v11, v19
	v_fmamk_f32 v43, v26, 0xbeedf032, v38
	v_add_f32_e32 v40, v8, v12
	v_mul_f32_e32 v46, 0x3f116cb1, v32
	v_add_f32_e32 v39, v16, v39
	v_fmamk_f32 v47, v31, 0x3f29c268, v42
	v_fmac_f32_e32 v30, 0xbe750f2a, v24
	v_sub_f32_e32 v41, v9, v13
	v_fmamk_f32 v48, v33, 0xbf52af12, v46
	v_add_f32_e32 v39, v39, v43
	v_mul_f32_e32 v43, 0xbeb58ec6, v40
	v_fmac_f32_e32 v38, 0x3eedf032, v26
	v_add_f32_e32 v30, v16, v30
	v_fmac_f32_e32 v42, 0xbf29c268, v31
	v_add_f32_e32 v39, v39, v47
	v_mul_f32_e32 v47, 0xbf3f9e67, v3
	v_fmamk_f32 v49, v41, 0x3f6f5d39, v43
	v_add_f32_e32 v30, v30, v38
	v_mul_f32_e32 v50, 0x3df6dbef, v25
	v_add_f32_e32 v39, v39, v48
	v_fmamk_f32 v48, v24, 0x3f29c268, v47
	v_add_f32_e32 v44, v4, v6
	v_add_f32_e32 v30, v30, v42
	v_fmac_f32_e32 v46, 0x3f52af12, v33
	v_add_f32_e32 v39, v39, v49
	v_add_f32_e32 v42, v16, v48
	v_fmamk_f32 v48, v26, 0xbf7e222b, v50
	v_mul_f32_e32 v49, 0x3f116cb1, v27
	v_sub_f32_e32 v45, v5, v7
	v_mul_f32_e32 v38, 0x3df6dbef, v44
	v_add_f32_e32 v30, v30, v46
	v_fmac_f32_e32 v43, 0xbf6f5d39, v41
	v_add_f32_e32 v42, v42, v48
	v_fmamk_f32 v46, v31, 0x3f52af12, v49
	v_mul_f32_e32 v48, 0xbf788fa5, v32
	v_fmamk_f32 v51, v45, 0xbf7e222b, v38
	v_add_f32_e32 v30, v30, v43
	v_fmac_f32_e32 v47, 0xbf29c268, v24
	v_add_f32_e32 v42, v42, v46
	v_fmamk_f32 v43, v33, 0xbe750f2a, v48
	v_mul_f32_e32 v46, 0x3f62ad3f, v40
	v_fmac_f32_e32 v38, 0x3f7e222b, v45
	v_add_f32_e32 v47, v16, v47
	v_fmac_f32_e32 v50, 0x3f7e222b, v26
	v_add_f32_e32 v42, v42, v43
	v_fmamk_f32 v43, v41, 0xbeedf032, v46
	v_add_f32_e32 v30, v30, v38
	v_mul_f32_e32 v38, 0xbeb58ec6, v3
	v_add_f32_e32 v39, v39, v51
	v_add_f32_e32 v47, v47, v50
	v_fmac_f32_e32 v49, 0xbf52af12, v31
	v_add_f32_e32 v42, v42, v43
	v_mul_f32_e32 v43, 0xbeb58ec6, v44
	v_fmamk_f32 v50, v24, 0x3f6f5d39, v38
	v_mul_f32_e32 v51, 0xbf3f9e67, v25
	v_add_f32_e32 v47, v47, v49
	v_fmac_f32_e32 v48, 0x3e750f2a, v33
	v_fmamk_f32 v49, v45, 0x3f6f5d39, v43
	v_add_f32_e32 v50, v16, v50
	v_fmamk_f32 v52, v26, 0xbf29c268, v51
	v_mul_f32_e32 v53, 0x3f62ad3f, v27
	v_add_f32_e32 v47, v47, v48
	v_fmac_f32_e32 v46, 0x3eedf032, v41
	v_add_f32_e32 v42, v42, v49
	v_add_f32_e32 v48, v50, v52
	v_fmamk_f32 v49, v31, 0xbeedf032, v53
	v_mul_f32_e32 v50, 0x3df6dbef, v32
	v_add_f32_e32 v46, v47, v46
	v_fmac_f32_e32 v43, 0xbf6f5d39, v45
	v_fmac_f32_e32 v38, 0xbf6f5d39, v24
	v_add_f32_e32 v47, v48, v49
	v_fmamk_f32 v48, v33, 0x3f7e222b, v50
	v_mul_f32_e32 v49, 0xbf788fa5, v40
	v_add_f32_e32 v43, v46, v43
	v_add_f32_e32 v38, v16, v38
	v_fmac_f32_e32 v51, 0x3f29c268, v26
	v_add_f32_e32 v46, v47, v48
	v_fmamk_f32 v47, v41, 0xbe750f2a, v49
	v_mul_f32_e32 v48, 0x3f116cb1, v44
	v_mul_f32_e32 v52, 0x3df6dbef, v3
	v_add_f32_e32 v38, v38, v51
	v_fmac_f32_e32 v53, 0x3eedf032, v31
	v_add_f32_e32 v46, v46, v47
	v_fmamk_f32 v47, v45, 0xbf52af12, v48
	v_fmamk_f32 v51, v24, 0x3f7e222b, v52
	v_mul_f32_e32 v54, 0xbf788fa5, v25
	v_add_f32_e32 v38, v38, v53
	v_fmac_f32_e32 v50, 0xbf7e222b, v33
	v_add_f32_e32 v46, v46, v47
	v_add_f32_e32 v47, v16, v51
	v_fmamk_f32 v51, v26, 0x3e750f2a, v54
	v_mul_f32_e32 v53, 0xbeb58ec6, v27
	v_fmac_f32_e32 v52, 0xbf7e222b, v24
	v_add_f32_e32 v38, v38, v50
	v_fmac_f32_e32 v49, 0x3e750f2a, v41
	v_add_f32_e32 v47, v47, v51
	v_fmamk_f32 v50, v31, 0xbf6f5d39, v53
	v_mul_f32_e32 v51, 0x3f62ad3f, v32
	v_add_f32_e32 v52, v16, v52
	v_fmac_f32_e32 v54, 0xbe750f2a, v26
	v_add_f32_e32 v38, v38, v49
	v_fmac_f32_e32 v48, 0x3f52af12, v45
	v_add_f32_e32 v47, v47, v50
	v_fmamk_f32 v49, v33, 0xbeedf032, v51
	v_add_f32_e32 v50, v52, v54
	v_fmac_f32_e32 v53, 0x3f6f5d39, v31
	v_mul_f32_e32 v52, 0x3f116cb1, v3
	v_add_f32_e32 v38, v38, v48
	v_mul_f32_e32 v48, 0x3f116cb1, v40
	v_add_f32_e32 v47, v47, v49
	v_add_f32_e32 v49, v50, v53
	v_fmac_f32_e32 v51, 0x3eedf032, v33
	v_fmamk_f32 v53, v24, 0x3f52af12, v52
	v_mul_f32_e32 v54, 0xbeb58ec6, v25
	v_fmamk_f32 v50, v41, 0x3f52af12, v48
	v_mul_f32_e32 v55, 0xbf3f9e67, v44
	v_add_f32_e32 v49, v49, v51
	v_fmac_f32_e32 v48, 0xbf52af12, v41
	v_add_f32_e32 v51, v16, v53
	v_fmamk_f32 v53, v26, 0x3f6f5d39, v54
	v_mul_f32_e32 v56, 0xbf788fa5, v27
	v_fmamk_f32 v57, v45, 0x3f29c268, v55
	v_add_f32_e32 v48, v49, v48
	v_fmac_f32_e32 v55, 0xbf29c268, v45
	v_add_f32_e32 v49, v51, v53
	v_fmamk_f32 v51, v31, 0x3e750f2a, v56
	v_mul_f32_e32 v53, 0xbf3f9e67, v32
	v_add_f32_e32 v47, v47, v50
	v_add_f32_e32 v48, v48, v55
	;; [unrolled: 1-line block ×4, first 2 shown]
	v_fmamk_f32 v50, v33, 0xbf29c268, v53
	v_mul_f32_e32 v51, 0x3df6dbef, v40
	v_fmac_f32_e32 v52, 0xbf52af12, v24
	v_add_f32_e32 v55, v55, v20
	v_fmac_f32_e32 v54, 0xbf6f5d39, v26
	v_add_f32_e32 v49, v49, v50
	v_fmamk_f32 v50, v41, 0xbf7e222b, v51
	v_add_f32_e32 v52, v16, v52
	v_fmac_f32_e32 v56, 0xbe750f2a, v31
	v_mul_f32_e32 v3, 0x3f62ad3f, v3
	v_fmac_f32_e32 v53, 0x3f29c268, v33
	v_add_f32_e32 v49, v49, v50
	v_add_f32_e32 v50, v55, v14
	;; [unrolled: 1-line block ×3, first 2 shown]
	v_mul_f32_e32 v25, 0x3f116cb1, v25
	v_fmamk_f32 v55, v24, 0x3eedf032, v3
	v_fmac_f32_e32 v3, 0xbeedf032, v24
	v_add_f32_e32 v50, v50, v10
	v_add_f32_e32 v52, v52, v56
	v_mul_f32_e32 v27, 0x3df6dbef, v27
	v_mul_f32_e32 v32, 0xbeb58ec6, v32
	v_add_f32_e32 v3, v16, v3
	v_add_f32_e32 v50, v50, v8
	v_add_f32_e32 v24, v52, v53
	v_fmamk_f32 v52, v26, 0x3f52af12, v25
	v_fmac_f32_e32 v25, 0xbf52af12, v26
	v_add_f32_e32 v16, v16, v55
	v_add_f32_e32 v26, v50, v4
	v_fmamk_f32 v50, v31, 0x3f7e222b, v27
	v_fmac_f32_e32 v27, 0xbf7e222b, v31
	v_add_f32_e32 v3, v3, v25
	v_add_f32_e32 v16, v16, v52
	;; [unrolled: 1-line block ×3, first 2 shown]
	v_fmamk_f32 v26, v33, 0x3f6f5d39, v32
	v_mul_f32_e32 v31, 0xbf3f9e67, v40
	v_add_f32_e32 v3, v3, v27
	v_fmac_f32_e32 v32, 0xbf6f5d39, v33
	v_add_f32_e32 v25, v12, v25
	v_add_f32_e32 v16, v16, v50
	v_fmamk_f32 v27, v41, 0x3f29c268, v31
	v_mul_f32_e32 v33, 0xbf788fa5, v44
	v_add_f32_e32 v3, v3, v32
	v_add_f32_e32 v25, v18, v25
	v_fmac_f32_e32 v31, 0xbf29c268, v41
	v_mul_f32_e32 v58, 0x3f62ad3f, v44
	v_fmac_f32_e32 v51, 0x3f7e222b, v41
	v_add_f32_e32 v16, v16, v26
	v_add_f32_e32 v25, v22, v25
	v_fmamk_f32 v26, v45, 0x3e750f2a, v33
	v_add_f32_e32 v3, v3, v31
	v_fmac_f32_e32 v33, 0xbe750f2a, v45
	v_fmamk_f32 v54, v45, 0xbeedf032, v58
	v_add_f32_e32 v25, v36, v25
	v_add_f32_e32 v24, v24, v51
	v_fmac_f32_e32 v58, 0x3eedf032, v45
	v_add_f32_e32 v16, v16, v27
	v_add_f32_e32 v3, v3, v33
	;; [unrolled: 1-line block ×3, first 2 shown]
	v_mad_u32_u24 v27, v2, 52, 0
	v_add_f32_e32 v24, v24, v58
	v_add_f32_e32 v31, v47, v57
	v_add_f32_e32 v32, v49, v54
	v_add_f32_e32 v16, v16, v26
	ds_write2_b32 v27, v25, v3 offset1:1
	ds_write2_b32 v27, v24, v48 offset0:2 offset1:3
	ds_write2_b32 v27, v38, v43 offset0:4 offset1:5
	;; [unrolled: 1-line block ×5, first 2 shown]
	ds_write_b32 v27, v16 offset:48
.LBB0_13:
	s_or_b32 exec_lo, exec_lo, s1
	v_lshl_add_u32 v38, v2, 2, 0
	s_waitcnt vmcnt(0) lgkmcnt(0)
	s_barrier
	buffer_gl0_inv
	v_add_nc_u32_e32 v39, 0x600, v38
	v_add_nc_u32_e32 v40, 0x200, v38
	v_add_nc_u32_e32 v41, 0x800, v38
	ds_read2_b32 v[26:27], v38 offset1:104
	ds_read2_b32 v[32:33], v39 offset0:32 offset1:136
	ds_read2_b32 v[24:25], v40 offset0:80 offset1:184
	;; [unrolled: 1-line block ×3, first 2 shown]
	s_waitcnt lgkmcnt(0)
	s_barrier
	buffer_gl0_inv
	s_and_saveexec_b32 s1, s0
	s_cbranch_execz .LBB0_15
; %bb.14:
	v_add_f32_e32 v3, v17, v29
	v_sub_f32_e32 v16, v28, v34
	v_add_f32_e32 v28, v29, v35
	v_sub_f32_e32 v20, v20, v36
	v_add_f32_e32 v29, v21, v37
	v_add_f32_e32 v3, v3, v21
	v_mul_f32_e32 v34, 0xbf52af12, v16
	v_mul_f32_e32 v21, 0xbeedf032, v16
	;; [unrolled: 1-line block ×4, first 2 shown]
	v_add_f32_e32 v3, v3, v15
	v_fma_f32 v49, 0x3f116cb1, v28, -v34
	v_fmac_f32_e32 v34, 0x3f116cb1, v28
	v_mul_f32_e32 v43, 0xbf29c268, v16
	v_fma_f32 v54, 0xbeb58ec6, v29, -v45
	v_add_f32_e32 v3, v3, v11
	v_fmac_f32_e32 v45, 0xbeb58ec6, v29
	v_add_f32_e32 v34, v17, v34
	v_mul_f32_e32 v42, 0xbf6f5d39, v16
	v_mul_f32_e32 v16, 0xbe750f2a, v16
	v_add_f32_e32 v3, v3, v9
	v_mul_f32_e32 v44, 0xbf52af12, v20
	v_mul_f32_e32 v46, 0xbe750f2a, v20
	v_fma_f32 v48, 0x3f62ad3f, v28, -v21
	v_fmac_f32_e32 v21, 0x3f62ad3f, v28
	v_add_f32_e32 v3, v3, v5
	v_fma_f32 v50, 0x3df6dbef, v28, -v36
	v_fmac_f32_e32 v36, 0x3df6dbef, v28
	v_fma_f32 v52, 0xbf3f9e67, v28, -v43
	v_fmac_f32_e32 v43, 0xbf3f9e67, v28
	v_add_f32_e32 v3, v3, v7
	v_add_f32_e32 v34, v34, v45
	v_mul_f32_e32 v45, 0x3f7e222b, v20
	v_sub_f32_e32 v14, v14, v22
	v_mul_f32_e32 v47, 0x3f29c268, v20
	v_add_f32_e32 v3, v13, v3
	v_fma_f32 v51, 0xbeb58ec6, v28, -v42
	v_fmac_f32_e32 v42, 0xbeb58ec6, v28
	v_fma_f32 v53, 0xbf788fa5, v28, -v16
	v_fmac_f32_e32 v16, 0xbf788fa5, v28
	v_add_f32_e32 v3, v19, v3
	v_fma_f32 v28, 0x3f116cb1, v29, -v44
	v_fmac_f32_e32 v44, 0x3f116cb1, v29
	v_add_f32_e32 v48, v17, v48
	v_add_f32_e32 v21, v17, v21
	;; [unrolled: 1-line block ×5, first 2 shown]
	v_fma_f32 v22, 0x3df6dbef, v29, -v45
	v_mul_f32_e32 v20, 0x3eedf032, v20
	v_add_f32_e32 v3, v37, v3
	v_fmac_f32_e32 v45, 0x3df6dbef, v29
	v_add_f32_e32 v15, v15, v23
	v_mul_f32_e32 v23, 0xbf7e222b, v14
	v_add_f32_e32 v49, v17, v49
	v_add_f32_e32 v3, v35, v3
	v_fma_f32 v35, 0xbf788fa5, v29, -v46
	v_fmac_f32_e32 v46, 0xbf788fa5, v29
	v_add_f32_e32 v50, v17, v50
	v_add_f32_e32 v51, v17, v51
	;; [unrolled: 1-line block ×8, first 2 shown]
	v_fma_f32 v44, 0xbf3f9e67, v29, -v47
	v_fmac_f32_e32 v47, 0xbf3f9e67, v29
	v_add_f32_e32 v36, v36, v46
	v_fma_f32 v46, 0x3f62ad3f, v29, -v20
	v_fmac_f32_e32 v20, 0x3f62ad3f, v29
	v_add_f32_e32 v29, v43, v45
	v_fma_f32 v43, 0x3df6dbef, v15, -v23
	v_mul_f32_e32 v45, 0xbe750f2a, v14
	v_add_f32_e32 v28, v49, v54
	v_add_f32_e32 v16, v16, v20
	;; [unrolled: 1-line block ×4, first 2 shown]
	v_fma_f32 v20, 0xbf788fa5, v15, -v45
	v_mul_f32_e32 v43, 0x3f6f5d39, v14
	v_fmac_f32_e32 v23, 0x3df6dbef, v15
	v_sub_f32_e32 v10, v10, v18
	v_add_f32_e32 v22, v52, v22
	v_add_f32_e32 v20, v28, v20
	v_fma_f32 v28, 0xbeb58ec6, v15, -v43
	v_fmac_f32_e32 v45, 0xbf788fa5, v15
	v_add_f32_e32 v21, v21, v23
	v_mul_f32_e32 v23, 0x3eedf032, v14
	v_add_f32_e32 v11, v11, v19
	v_add_f32_e32 v28, v35, v28
	v_mul_f32_e32 v35, 0xbf52af12, v14
	v_mul_f32_e32 v14, 0xbf29c268, v14
	;; [unrolled: 1-line block ×3, first 2 shown]
	v_add_f32_e32 v34, v34, v45
	v_fmac_f32_e32 v43, 0xbeb58ec6, v15
	v_fma_f32 v18, 0x3f116cb1, v15, -v35
	v_fmac_f32_e32 v35, 0x3f116cb1, v15
	v_fma_f32 v45, 0x3f62ad3f, v15, -v23
	v_fmac_f32_e32 v23, 0x3f62ad3f, v15
	v_add_f32_e32 v42, v42, v47
	v_add_f32_e32 v18, v22, v18
	v_fma_f32 v22, 0xbf3f9e67, v15, -v14
	v_add_f32_e32 v29, v29, v35
	v_fmac_f32_e32 v14, 0xbf3f9e67, v15
	v_fma_f32 v15, 0xbeb58ec6, v11, -v19
	v_mul_f32_e32 v35, 0x3f29c268, v10
	v_fmac_f32_e32 v19, 0xbeb58ec6, v11
	v_add_f32_e32 v37, v37, v46
	v_add_f32_e32 v14, v16, v14
	v_add_f32_e32 v15, v17, v15
	v_fma_f32 v16, 0xbf3f9e67, v11, -v35
	v_mul_f32_e32 v17, 0x3eedf032, v10
	v_add_f32_e32 v19, v21, v19
	v_fmac_f32_e32 v35, 0xbf3f9e67, v11
	v_mul_f32_e32 v21, 0xbf7e222b, v10
	v_add_f32_e32 v16, v20, v16
	v_fma_f32 v20, 0x3f62ad3f, v11, -v17
	v_add_f32_e32 v23, v42, v23
	v_add_f32_e32 v34, v34, v35
	v_fma_f32 v35, 0x3df6dbef, v11, -v21
	v_fmac_f32_e32 v21, 0x3df6dbef, v11
	v_add_f32_e32 v20, v28, v20
	v_mul_f32_e32 v28, 0x3e750f2a, v10
	v_sub_f32_e32 v8, v8, v12
	v_mul_f32_e32 v10, 0x3f52af12, v10
	v_add_f32_e32 v22, v37, v22
	v_add_f32_e32 v21, v23, v21
	;; [unrolled: 1-line block ×3, first 2 shown]
	v_mul_f32_e32 v13, 0xbf29c268, v8
	v_fma_f32 v23, 0x3f116cb1, v11, -v10
	v_fmac_f32_e32 v10, 0x3f116cb1, v11
	v_add_f32_e32 v36, v36, v43
	v_fmac_f32_e32 v17, 0x3f62ad3f, v11
	v_fma_f32 v12, 0xbf788fa5, v11, -v28
	v_fmac_f32_e32 v28, 0xbf788fa5, v11
	v_fma_f32 v11, 0xbf3f9e67, v9, -v13
	v_add_f32_e32 v22, v22, v23
	v_mul_f32_e32 v23, 0x3f7e222b, v8
	v_fmac_f32_e32 v13, 0xbf3f9e67, v9
	v_add_f32_e32 v10, v14, v10
	v_mul_f32_e32 v14, 0xbf52af12, v8
	v_add_f32_e32 v17, v36, v17
	v_add_f32_e32 v12, v18, v12
	;; [unrolled: 1-line block ×4, first 2 shown]
	v_fma_f32 v15, 0x3df6dbef, v9, -v23
	v_add_f32_e32 v13, v19, v13
	v_fmac_f32_e32 v23, 0x3df6dbef, v9
	v_mul_f32_e32 v19, 0x3e750f2a, v8
	v_fma_f32 v28, 0x3f116cb1, v9, -v14
	v_fmac_f32_e32 v14, 0x3f116cb1, v9
	v_add_f32_e32 v15, v16, v15
	v_add_f32_e32 v16, v34, v23
	v_fma_f32 v23, 0xbf788fa5, v9, -v19
	v_fmac_f32_e32 v19, 0xbf788fa5, v9
	v_add_f32_e32 v14, v17, v14
	v_mul_f32_e32 v17, 0x3eedf032, v8
	v_mul_f32_e32 v8, 0xbf6f5d39, v8
	v_sub_f32_e32 v4, v4, v6
	v_add_f32_e32 v44, v51, v44
	v_add_f32_e32 v19, v21, v19
	v_fma_f32 v6, 0x3f62ad3f, v9, -v17
	v_fmac_f32_e32 v17, 0x3f62ad3f, v9
	v_fma_f32 v21, 0xbeb58ec6, v9, -v8
	v_add_f32_e32 v5, v5, v7
	v_mul_f32_e32 v7, 0xbe750f2a, v4
	v_fmac_f32_e32 v8, 0xbeb58ec6, v9
	v_add_f32_e32 v43, v44, v45
	v_add_f32_e32 v9, v18, v17
	v_mul_f32_e32 v18, 0x3eedf032, v4
	v_fma_f32 v17, 0xbf788fa5, v5, -v7
	v_add_f32_e32 v8, v10, v8
	v_mul_f32_e32 v10, 0xbf29c268, v4
	v_fmac_f32_e32 v7, 0xbf788fa5, v5
	v_add_f32_e32 v35, v43, v35
	v_add_f32_e32 v20, v20, v28
	;; [unrolled: 1-line block ×5, first 2 shown]
	v_fma_f32 v17, 0x3f62ad3f, v5, -v18
	v_fmac_f32_e32 v18, 0x3f62ad3f, v5
	v_fma_f32 v21, 0xbf3f9e67, v5, -v10
	v_add_f32_e32 v7, v13, v7
	v_mul_f32_e32 v13, 0x3f52af12, v4
	v_add_f32_e32 v23, v35, v23
	v_add_f32_e32 v15, v15, v17
	;; [unrolled: 1-line block ×4, first 2 shown]
	v_fmac_f32_e32 v10, 0xbf3f9e67, v5
	v_fma_f32 v18, 0x3f116cb1, v5, -v13
	v_mul_f32_e32 v20, 0xbf6f5d39, v4
	v_fmac_f32_e32 v13, 0x3f116cb1, v5
	v_mul_f32_e32 v4, 0x3f7e222b, v4
	v_add_f32_e32 v10, v14, v10
	v_add_f32_e32 v14, v23, v18
	v_fma_f32 v18, 0xbeb58ec6, v5, -v20
	v_add_f32_e32 v13, v19, v13
	v_fma_f32 v19, 0x3df6dbef, v5, -v4
	v_fmac_f32_e32 v4, 0x3df6dbef, v5
	v_fmac_f32_e32 v20, 0xbeb58ec6, v5
	v_mad_u32_u24 v5, v2, 48, v38
	v_add_f32_e32 v6, v6, v18
	v_add_f32_e32 v12, v12, v19
	;; [unrolled: 1-line block ×4, first 2 shown]
	ds_write2_b32 v5, v3, v11 offset1:1
	ds_write2_b32 v5, v15, v17 offset0:2 offset1:3
	ds_write2_b32 v5, v14, v6 offset0:4 offset1:5
	;; [unrolled: 1-line block ×5, first 2 shown]
	ds_write_b32 v5, v7 offset:48
.LBB0_15:
	s_or_b32 exec_lo, exec_lo, s1
	v_and_b32_e32 v3, 0xff, v2
	v_add_nc_u16 v34, v2, 0x68
	v_add_nc_u32_e32 v19, 0xd0, v2
	v_mov_b32_e32 v4, 0x4ec5
	v_add_nc_u32_e32 v18, 0x138, v2
	v_mul_lo_u16 v17, 0x4f, v3
	v_and_b32_e32 v3, 0xff, v34
	v_mov_b32_e32 v37, 3
	v_mul_u32_u24_sdwa v35, v19, v4 dst_sel:DWORD dst_unused:UNUSED_PAD src0_sel:WORD_0 src1_sel:DWORD
	v_mul_u32_u24_sdwa v36, v18, v4 dst_sel:DWORD dst_unused:UNUSED_PAD src0_sel:WORD_0 src1_sel:DWORD
	v_lshrrev_b16 v22, 10, v17
	v_mul_lo_u16 v28, 0x4f, v3
	s_waitcnt lgkmcnt(0)
	v_lshrrev_b32_e32 v29, 18, v35
	v_lshrrev_b32_e32 v43, 18, v36
	v_mul_lo_u16 v3, v22, 13
	v_lshrrev_b16 v23, 10, v28
	s_barrier
	v_mul_lo_u16 v4, v29, 13
	v_mul_lo_u16 v6, v43, 13
	v_sub_nc_u16 v42, v2, v3
	v_mul_lo_u16 v3, v23, 13
	buffer_gl0_inv
	v_sub_nc_u16 v45, v19, v4
	v_sub_nc_u16 v46, v18, v6
	v_lshlrev_b32_sdwa v5, v37, v42 dst_sel:DWORD dst_unused:UNUSED_PAD src0_sel:DWORD src1_sel:BYTE_0
	v_sub_nc_u16 v44, v34, v3
	v_mov_b32_e32 v47, 0x68
	v_lshlrev_b32_sdwa v7, v37, v45 dst_sel:DWORD dst_unused:UNUSED_PAD src0_sel:DWORD src1_sel:WORD_0
	v_lshlrev_b32_sdwa v9, v37, v46 dst_sel:DWORD dst_unused:UNUSED_PAD src0_sel:DWORD src1_sel:WORD_0
	global_load_dwordx2 v[3:4], v5, s[8:9]
	v_lshlrev_b32_sdwa v5, v37, v44 dst_sel:DWORD dst_unused:UNUSED_PAD src0_sel:DWORD src1_sel:BYTE_0
	v_mov_b32_e32 v48, 2
	v_lshrrev_b16 v49, 11, v17
	v_mul_u32_u24_sdwa v17, v22, v47 dst_sel:DWORD dst_unused:UNUSED_PAD src0_sel:WORD_0 src1_sel:DWORD
	s_clause 0x2
	global_load_dwordx2 v[5:6], v5, s[8:9]
	global_load_dwordx2 v[7:8], v7, s[8:9]
	;; [unrolled: 1-line block ×3, first 2 shown]
	ds_read2_b32 v[11:12], v38 offset1:104
	ds_read2_b32 v[13:14], v39 offset0:32 offset1:136
	ds_read2_b32 v[15:16], v40 offset0:80 offset1:184
	;; [unrolled: 1-line block ×3, first 2 shown]
	v_mul_u32_u24_e32 v22, 0x68, v29
	v_lshlrev_b32_sdwa v45, v48, v45 dst_sel:DWORD dst_unused:UNUSED_PAD src0_sel:DWORD src1_sel:WORD_0
	v_lshrrev_b16 v52, 11, v28
	v_lshrrev_b32_e32 v50, 19, v35
	v_lshrrev_b32_e32 v51, 19, v36
	v_mul_u32_u24_e32 v29, 0x68, v43
	v_add3_u32 v22, 0, v22, v45
	v_mul_lo_u16 v43, v49, 26
	v_lshlrev_b32_sdwa v42, v48, v42 dst_sel:DWORD dst_unused:UNUSED_PAD src0_sel:DWORD src1_sel:BYTE_0
	v_mul_u32_u24_sdwa v23, v23, v47 dst_sel:DWORD dst_unused:UNUSED_PAD src0_sel:WORD_0 src1_sel:DWORD
	v_mul_lo_u16 v47, v52, 26
	v_mul_lo_u16 v53, v50, 26
	;; [unrolled: 1-line block ×3, first 2 shown]
	v_sub_nc_u16 v43, v2, v43
	v_add3_u32 v17, 0, v17, v42
	v_lshlrev_b32_sdwa v42, v48, v44 dst_sel:DWORD dst_unused:UNUSED_PAD src0_sel:DWORD src1_sel:BYTE_0
	v_lshlrev_b32_sdwa v46, v48, v46 dst_sel:DWORD dst_unused:UNUSED_PAD src0_sel:DWORD src1_sel:WORD_0
	v_sub_nc_u16 v47, v34, v47
	v_sub_nc_u16 v53, v19, v53
	v_sub_nc_u16 v54, v18, v54
	v_lshlrev_b32_sdwa v55, v37, v43 dst_sel:DWORD dst_unused:UNUSED_PAD src0_sel:DWORD src1_sel:BYTE_0
	v_add3_u32 v23, 0, v23, v42
	v_add3_u32 v29, 0, v29, v46
	v_lshlrev_b32_sdwa v44, v37, v47 dst_sel:DWORD dst_unused:UNUSED_PAD src0_sel:DWORD src1_sel:BYTE_0
	v_lshlrev_b32_sdwa v56, v37, v53 dst_sel:DWORD dst_unused:UNUSED_PAD src0_sel:DWORD src1_sel:WORD_0
	s_waitcnt vmcnt(0) lgkmcnt(0)
	s_barrier
	buffer_gl0_inv
	v_cmp_gt_u32_e64 s0, 52, v2
	v_lshrrev_b32_e32 v42, 20, v35
	v_lshlrev_b32_sdwa v43, v48, v43 dst_sel:DWORD dst_unused:UNUSED_PAD src0_sel:DWORD src1_sel:BYTE_0
	v_mul_f32_e32 v45, v13, v4
	v_mul_f32_e32 v4, v32, v4
	v_fmac_f32_e32 v45, v32, v3
	v_fma_f32 v3, v13, v3, -v4
	v_mul_f32_e32 v4, v14, v6
	v_mul_f32_e32 v6, v33, v6
	;; [unrolled: 1-line block ×6, first 2 shown]
	v_fmac_f32_e32 v4, v33, v5
	v_fma_f32 v5, v14, v5, -v6
	v_fmac_f32_e32 v13, v30, v7
	v_fma_f32 v7, v20, v7, -v8
	;; [unrolled: 2-line block ×3, first 2 shown]
	v_sub_f32_e32 v6, v26, v45
	v_sub_f32_e32 v3, v11, v3
	;; [unrolled: 1-line block ×8, first 2 shown]
	v_fma_f32 v9, v26, 2.0, -v6
	v_fma_f32 v14, v11, 2.0, -v3
	;; [unrolled: 1-line block ×8, first 2 shown]
	ds_write2_b32 v17, v9, v6 offset1:13
	ds_write2_b32 v23, v8, v4 offset1:13
	;; [unrolled: 1-line block ×4, first 2 shown]
	s_waitcnt lgkmcnt(0)
	s_barrier
	buffer_gl0_inv
	ds_read2_b32 v[6:7], v38 offset1:104
	ds_read2_b32 v[8:9], v39 offset0:32 offset1:136
	ds_read2_b32 v[10:11], v40 offset0:80 offset1:184
	;; [unrolled: 1-line block ×3, first 2 shown]
	s_waitcnt lgkmcnt(0)
	s_barrier
	buffer_gl0_inv
	ds_write2_b32 v17, v14, v3 offset1:13
	ds_write2_b32 v23, v26, v5 offset1:13
	;; [unrolled: 1-line block ×4, first 2 shown]
	s_waitcnt lgkmcnt(0)
	s_barrier
	buffer_gl0_inv
	global_load_dwordx2 v[14:15], v55, s[8:9] offset:104
	v_lshlrev_b32_sdwa v3, v37, v54 dst_sel:DWORD dst_unused:UNUSED_PAD src0_sel:DWORD src1_sel:WORD_0
	s_clause 0x2
	global_load_dwordx2 v[16:17], v44, s[8:9] offset:104
	global_load_dwordx2 v[20:21], v56, s[8:9] offset:104
	;; [unrolled: 1-line block ×3, first 2 shown]
	v_subrev_nc_u32_e32 v3, 52, v2
	v_lshrrev_b32_e32 v44, 20, v36
	v_lshrrev_b16 v45, 12, v28
	v_mul_lo_u16 v28, v42, 52
	ds_read2_b32 v[26:27], v39 offset0:32 offset1:136
	v_cndmask_b32_e64 v4, v3, v2, s0
	v_mov_b32_e32 v3, 0xd0
	v_mul_lo_u16 v29, v44, 52
	v_mul_lo_u16 v33, v45, 52
	v_sub_nc_u16 v46, v19, v28
	v_mul_u32_u24_e32 v31, 0xd0, v50
	v_mul_u32_u24_sdwa v30, v49, v3 dst_sel:DWORD dst_unused:UNUSED_PAD src0_sel:WORD_0 src1_sel:DWORD
	v_sub_nc_u16 v49, v18, v29
	ds_read2_b32 v[28:29], v41 offset0:112 offset1:216
	v_mul_u32_u24_e32 v32, 0xd0, v51
	v_mul_u32_u24_sdwa v3, v52, v3 dst_sel:DWORD dst_unused:UNUSED_PAD src0_sel:WORD_0 src1_sel:DWORD
	v_lshlrev_b32_sdwa v50, v48, v53 dst_sel:DWORD dst_unused:UNUSED_PAD src0_sel:DWORD src1_sel:WORD_0
	v_lshlrev_b32_sdwa v51, v48, v54 dst_sel:DWORD dst_unused:UNUSED_PAD src0_sel:DWORD src1_sel:WORD_0
	v_sub_nc_u16 v34, v34, v33
	v_lshlrev_b32_sdwa v33, v48, v47 dst_sel:DWORD dst_unused:UNUSED_PAD src0_sel:DWORD src1_sel:BYTE_0
	v_add3_u32 v43, 0, v30, v43
	v_add3_u32 v47, 0, v31, v50
	;; [unrolled: 1-line block ×3, first 2 shown]
	v_mov_b32_e32 v5, 0
	v_add3_u32 v3, 0, v3, v33
	ds_read2_b32 v[30:31], v38 offset1:104
	ds_read2_b32 v[32:33], v40 offset0:80 offset1:184
	v_lshlrev_b32_sdwa v51, v37, v34 dst_sel:DWORD dst_unused:UNUSED_PAD src0_sel:DWORD src1_sel:BYTE_0
	v_lshlrev_b32_sdwa v52, v37, v46 dst_sel:DWORD dst_unused:UNUSED_PAD src0_sel:DWORD src1_sel:WORD_0
	v_lshlrev_b64 v[24:25], 3, v[4:5]
	s_waitcnt vmcnt(0) lgkmcnt(0)
	s_barrier
	buffer_gl0_inv
	v_lshlrev_b32_sdwa v34, v48, v34 dst_sel:DWORD dst_unused:UNUSED_PAD src0_sel:DWORD src1_sel:BYTE_0
	v_lshlrev_b32_e32 v4, 2, v4
	v_add_co_u32 v24, s0, s8, v24
	v_add_co_ci_u32_e64 v25, s0, s9, v25, s0
	v_cmp_lt_u32_e64 s0, 51, v2
	v_mul_f32_e32 v53, v26, v15
	v_mul_f32_e32 v15, v8, v15
	;; [unrolled: 1-line block ×8, first 2 shown]
	v_fmac_f32_e32 v53, v8, v14
	v_fma_f32 v8, v26, v14, -v15
	v_fmac_f32_e32 v54, v9, v16
	v_fma_f32 v9, v27, v16, -v17
	;; [unrolled: 2-line block ×4, first 2 shown]
	v_sub_f32_e32 v14, v6, v53
	v_sub_f32_e32 v16, v30, v8
	;; [unrolled: 1-line block ×8, first 2 shown]
	v_fma_f32 v6, v6, 2.0, -v14
	v_fma_f32 v22, v30, 2.0, -v16
	;; [unrolled: 1-line block ×8, first 2 shown]
	ds_write2_b32 v43, v6, v14 offset1:26
	ds_write2_b32 v3, v7, v8 offset1:26
	;; [unrolled: 1-line block ×4, first 2 shown]
	s_waitcnt lgkmcnt(0)
	s_barrier
	buffer_gl0_inv
	ds_read2_b32 v[8:9], v38 offset1:104
	ds_read2_b32 v[10:11], v39 offset0:32 offset1:136
	ds_read2_b32 v[12:13], v40 offset0:80 offset1:184
	;; [unrolled: 1-line block ×3, first 2 shown]
	s_waitcnt lgkmcnt(0)
	s_barrier
	buffer_gl0_inv
	ds_write2_b32 v43, v22, v16 offset1:26
	ds_write2_b32 v3, v23, v17 offset1:26
	;; [unrolled: 1-line block ×4, first 2 shown]
	s_waitcnt lgkmcnt(0)
	s_barrier
	buffer_gl0_inv
	global_load_dwordx2 v[16:17], v[24:25], off offset:312
	v_lshlrev_b32_sdwa v3, v37, v49 dst_sel:DWORD dst_unused:UNUSED_PAD src0_sel:DWORD src1_sel:WORD_0
	s_clause 0x2
	global_load_dwordx2 v[20:21], v51, s[8:9] offset:312
	global_load_dwordx2 v[22:23], v52, s[8:9] offset:312
	;; [unrolled: 1-line block ×3, first 2 shown]
	v_lshrrev_b32_e32 v7, 21, v35
	v_lshrrev_b32_e32 v26, 21, v36
	v_mov_b32_e32 v28, 0x1a0
	v_mul_u32_u24_e32 v30, 0x1a0, v42
	v_mul_u32_u24_e32 v31, 0x1a0, v44
	v_mul_lo_u16 v29, 0x68, v7
	v_mul_lo_u16 v32, 0x68, v26
	ds_read2_b32 v[26:27], v39 offset0:32 offset1:136
	v_mul_u32_u24_sdwa v33, v45, v28 dst_sel:DWORD dst_unused:UNUSED_PAD src0_sel:WORD_0 src1_sel:DWORD
	v_lshlrev_b32_sdwa v36, v48, v46 dst_sel:DWORD dst_unused:UNUSED_PAD src0_sel:DWORD src1_sel:WORD_0
	v_sub_nc_u16 v35, v19, v29
	ds_read2_b32 v[28:29], v41 offset0:112 offset1:216
	v_sub_nc_u16 v32, v18, v32
	v_lshlrev_b32_sdwa v37, v48, v49 dst_sel:DWORD dst_unused:UNUSED_PAD src0_sel:DWORD src1_sel:WORD_0
	v_add3_u32 v36, 0, v30, v36
	v_add3_u32 v34, 0, v33, v34
	v_mov_b32_e32 v3, v5
	v_and_b32_e32 v42, 0xffff, v32
	v_add3_u32 v37, 0, v31, v37
	ds_read2_b32 v[30:31], v38 offset1:104
	ds_read2_b32 v[32:33], v40 offset0:80 offset1:184
	v_cndmask_b32_e64 v6, 0, 0x1a0, s0
	v_lshlrev_b64 v[2:3], 3, v[2:3]
	v_and_b32_e32 v35, 0xffff, v35
	s_waitcnt vmcnt(0) lgkmcnt(0)
	s_barrier
	v_add3_u32 v4, 0, v6, v4
	buffer_gl0_inv
	v_add_co_u32 v6, s0, s8, v2
	v_add_co_ci_u32_e64 v7, s0, s9, v3, s0
	v_lshlrev_b32_e32 v43, 3, v35
	v_mul_f32_e32 v44, v26, v17
	v_mul_f32_e32 v17, v10, v17
	v_mul_f32_e32 v45, v27, v21
	v_mul_f32_e32 v21, v11, v21
	v_mul_f32_e32 v46, v28, v23
	v_mul_f32_e32 v23, v14, v23
	v_mul_f32_e32 v47, v29, v25
	v_mul_f32_e32 v25, v15, v25
	v_fmac_f32_e32 v44, v10, v16
	v_fma_f32 v10, v26, v16, -v17
	v_fmac_f32_e32 v45, v11, v20
	v_fma_f32 v11, v27, v20, -v21
	;; [unrolled: 2-line block ×4, first 2 shown]
	v_sub_f32_e32 v16, v8, v44
	v_sub_f32_e32 v20, v30, v10
	;; [unrolled: 1-line block ×8, first 2 shown]
	v_fma_f32 v8, v8, 2.0, -v16
	v_fma_f32 v24, v30, 2.0, -v20
	v_fma_f32 v9, v9, 2.0, -v10
	v_fma_f32 v25, v31, 2.0, -v21
	v_fma_f32 v12, v12, 2.0, -v11
	v_fma_f32 v26, v32, 2.0, -v22
	v_fma_f32 v13, v13, 2.0, -v14
	v_fma_f32 v27, v33, 2.0, -v23
	ds_write2_b32 v4, v8, v16 offset1:52
	ds_write2_b32 v34, v9, v10 offset1:52
	;; [unrolled: 1-line block ×4, first 2 shown]
	s_waitcnt lgkmcnt(0)
	s_barrier
	buffer_gl0_inv
	ds_read2_b32 v[8:9], v38 offset1:104
	ds_read2_b32 v[10:11], v39 offset0:32 offset1:136
	ds_read2_b32 v[14:15], v40 offset0:80 offset1:184
	;; [unrolled: 1-line block ×3, first 2 shown]
	s_waitcnt lgkmcnt(0)
	s_barrier
	buffer_gl0_inv
	ds_write2_b32 v4, v24, v20 offset1:52
	ds_write2_b32 v34, v25, v21 offset1:52
	;; [unrolled: 1-line block ×4, first 2 shown]
	v_lshlrev_b32_e32 v4, 3, v42
	s_waitcnt lgkmcnt(0)
	s_barrier
	buffer_gl0_inv
	s_clause 0x2
	global_load_dwordx2 v[20:21], v[6:7], off offset:728
	global_load_dwordx2 v[22:23], v43, s[8:9] offset:728
	global_load_dwordx2 v[24:25], v4, s[8:9] offset:728
	ds_read2_b32 v[26:27], v39 offset0:32 offset1:136
	ds_read2_b32 v[28:29], v41 offset0:112 offset1:216
	v_lshl_add_u32 v30, v42, 2, 0
	v_lshl_add_u32 v4, v35, 2, 0
	v_add_co_u32 v12, s0, 0x340, v6
	v_add_co_ci_u32_e64 v13, s0, 0, v7, s0
	v_add_nc_u32_e32 v34, 0x800, v30
	ds_read2_b32 v[30:31], v38 offset1:104
	ds_read2_b32 v[32:33], v40 offset0:80 offset1:184
	v_add_nc_u32_e32 v4, 0x600, v4
	s_waitcnt vmcnt(0) lgkmcnt(0)
	s_barrier
	buffer_gl0_inv
	v_mul_f32_e32 v35, v26, v21
	v_mul_f32_e32 v36, v10, v21
	;; [unrolled: 1-line block ×8, first 2 shown]
	v_fmac_f32_e32 v35, v10, v20
	v_fma_f32 v10, v26, v20, -v36
	v_fmac_f32_e32 v37, v11, v20
	v_fma_f32 v11, v27, v20, -v21
	v_fmac_f32_e32 v42, v16, v22
	v_fma_f32 v16, v28, v22, -v23
	v_fmac_f32_e32 v43, v17, v24
	v_fma_f32 v17, v29, v24, -v25
	v_sub_f32_e32 v20, v8, v35
	v_sub_f32_e32 v21, v30, v10
	;; [unrolled: 1-line block ×8, first 2 shown]
	v_fma_f32 v8, v8, 2.0, -v20
	v_fma_f32 v25, v30, 2.0, -v21
	;; [unrolled: 1-line block ×8, first 2 shown]
	ds_write2_b32 v38, v8, v20 offset1:104
	ds_write2_b32 v40, v9, v10 offset0:80 offset1:184
	ds_write2_b32 v4, v14, v11 offset0:32 offset1:136
	;; [unrolled: 1-line block ×3, first 2 shown]
	s_waitcnt lgkmcnt(0)
	s_barrier
	buffer_gl0_inv
	ds_read2_b32 v[8:9], v38 offset1:104
	ds_read2_b32 v[10:11], v39 offset0:32 offset1:136
	ds_read2_b32 v[14:15], v40 offset0:80 offset1:184
	;; [unrolled: 1-line block ×3, first 2 shown]
	s_waitcnt lgkmcnt(0)
	s_barrier
	buffer_gl0_inv
	ds_write2_b32 v38, v25, v21 offset1:104
	ds_write2_b32 v40, v26, v22 offset0:80 offset1:184
	ds_write2_b32 v4, v27, v23 offset0:32 offset1:136
	;; [unrolled: 1-line block ×3, first 2 shown]
	s_waitcnt lgkmcnt(0)
	s_barrier
	buffer_gl0_inv
	s_clause 0x1
	global_load_dwordx2 v[20:21], v[6:7], off offset:1560
	global_load_dwordx2 v[22:23], v[12:13], off offset:1560
	ds_read2_b32 v[24:25], v39 offset0:32 offset1:136
	ds_read2_b32 v[26:27], v41 offset0:112 offset1:216
	ds_read2_b32 v[28:29], v38 offset1:104
	ds_read2_b32 v[30:31], v40 offset0:80 offset1:184
	s_waitcnt vmcnt(0) lgkmcnt(0)
	s_barrier
	buffer_gl0_inv
	v_mul_f32_e32 v4, v24, v21
	v_mul_f32_e32 v33, v25, v23
	;; [unrolled: 1-line block ×5, first 2 shown]
	v_fmac_f32_e32 v4, v10, v20
	v_fmac_f32_e32 v33, v11, v22
	;; [unrolled: 1-line block ×4, first 2 shown]
	v_mul_f32_e32 v34, v11, v23
	v_sub_f32_e32 v4, v8, v4
	v_sub_f32_e32 v10, v9, v33
	v_mul_f32_e32 v21, v16, v21
	v_sub_f32_e32 v11, v14, v35
	v_sub_f32_e32 v16, v15, v36
	v_fma_f32 v8, v8, 2.0, -v4
	v_fma_f32 v9, v9, 2.0, -v10
	v_mul_f32_e32 v23, v17, v23
	v_fma_f32 v14, v14, 2.0, -v11
	v_fma_f32 v15, v15, 2.0, -v16
	ds_write2_b32 v40, v4, v10 offset0:80 offset1:184
	ds_write2_b32 v41, v11, v16 offset0:112 offset1:216
	ds_write2_b32 v38, v8, v9 offset1:104
	ds_write2_b32 v39, v14, v15 offset0:32 offset1:136
	s_waitcnt lgkmcnt(0)
	s_barrier
	buffer_gl0_inv
	ds_read2_b32 v[8:9], v38 offset1:104
	ds_read2_b32 v[14:15], v39 offset0:32 offset1:136
	ds_read2_b32 v[10:11], v40 offset0:80 offset1:184
	;; [unrolled: 1-line block ×3, first 2 shown]
	v_fma_f32 v24, v24, v20, -v32
	v_fma_f32 v25, v25, v22, -v34
	v_fma_f32 v20, v26, v20, -v21
	v_fma_f32 v21, v27, v22, -v23
	s_waitcnt lgkmcnt(0)
	v_sub_f32_e32 v4, v28, v24
	v_sub_f32_e32 v22, v29, v25
	;; [unrolled: 1-line block ×4, first 2 shown]
	s_barrier
	v_fma_f32 v23, v28, 2.0, -v4
	v_fma_f32 v24, v29, 2.0, -v22
	;; [unrolled: 1-line block ×4, first 2 shown]
	buffer_gl0_inv
	ds_write2_b32 v38, v23, v24 offset1:104
	ds_write2_b32 v40, v4, v22 offset0:80 offset1:184
	ds_write2_b32 v39, v25, v26 offset0:32 offset1:136
	;; [unrolled: 1-line block ×3, first 2 shown]
	s_waitcnt lgkmcnt(0)
	s_barrier
	buffer_gl0_inv
	s_and_saveexec_b32 s0, vcc_lo
	s_cbranch_execz .LBB0_17
; %bb.16:
	v_add_co_u32 v20, vcc_lo, 0x1000, v6
	v_add_co_ci_u32_e32 v21, vcc_lo, 0, v7, vcc_lo
	v_add_co_u32 v12, vcc_lo, 0x800, v12
	v_add_co_ci_u32_e32 v13, vcc_lo, 0, v13, vcc_lo
	;; [unrolled: 2-line block ×3, first 2 shown]
	s_clause 0x3
	global_load_dwordx2 v[22:23], v[20:21], off offset:1624
	global_load_dwordx2 v[12:13], v[12:13], off offset:1176
	;; [unrolled: 1-line block ×4, first 2 shown]
	v_add_nc_u32_e32 v4, 0x200, v38
	v_add_nc_u32_e32 v26, 0x800, v38
	;; [unrolled: 1-line block ×3, first 2 shown]
	v_add_co_u32 v34, vcc_lo, s2, v0
	ds_read2_b32 v[24:25], v38 offset1:104
	v_mul_hi_u32 v19, 0x4ec4ec4f, v19
	v_add_co_ci_u32_e32 v35, vcc_lo, s3, v1, vcc_lo
	ds_read2_b32 v[0:1], v4 offset0:80 offset1:184
	ds_read2_b32 v[26:27], v26 offset0:112 offset1:216
	;; [unrolled: 1-line block ×3, first 2 shown]
	v_mul_hi_u32 v30, 0x4ec4ec4f, v18
	v_add_co_u32 v2, vcc_lo, v34, v2
	v_add_co_ci_u32_e32 v3, vcc_lo, v35, v3, vcc_lo
	v_lshrrev_b32_e32 v4, 7, v19
	v_lshrrev_b32_e32 v19, 7, v30
	v_add_co_u32 v30, vcc_lo, 0x800, v2
	v_mul_u32_u24_e32 v4, 0x1a0, v4
	v_add_co_ci_u32_e32 v31, vcc_lo, 0, v3, vcc_lo
	v_lshlrev_b64 v[32:33], 3, v[4:5]
	v_mad_u32_u24 v4, 0x1a0, v19, v18
	v_add_co_u32 v18, vcc_lo, 0x1000, v2
	v_add_co_ci_u32_e32 v19, vcc_lo, 0, v3, vcc_lo
	v_lshlrev_b64 v[4:5], 3, v[4:5]
	v_add_co_u32 v32, vcc_lo, v2, v32
	v_add_co_ci_u32_e32 v33, vcc_lo, v3, v33, vcc_lo
	v_add_co_u32 v4, vcc_lo, v34, v4
	v_add_co_ci_u32_e32 v5, vcc_lo, v35, v5, vcc_lo
	;; [unrolled: 2-line block ×4, first 2 shown]
	s_waitcnt vmcnt(3)
	v_mul_f32_e32 v38, v17, v23
	s_waitcnt lgkmcnt(1)
	v_mul_f32_e32 v23, v27, v23
	s_waitcnt vmcnt(2)
	v_mul_f32_e32 v40, v15, v13
	s_waitcnt vmcnt(0)
	v_mul_f32_e32 v39, v16, v21
	v_mul_f32_e32 v21, v26, v21
	s_waitcnt lgkmcnt(0)
	v_mul_f32_e32 v41, v29, v13
	v_mul_f32_e32 v13, v14, v7
	;; [unrolled: 1-line block ×3, first 2 shown]
	v_fmac_f32_e32 v23, v17, v22
	v_fma_f32 v17, v26, v20, -v39
	v_fmac_f32_e32 v21, v16, v20
	v_fma_f32 v16, v29, v12, -v40
	v_fma_f32 v20, v28, v6, -v13
	v_fmac_f32_e32 v42, v14, v6
	v_fma_f32 v7, v27, v22, -v38
	v_fmac_f32_e32 v41, v15, v12
	v_sub_f32_e32 v13, v0, v17
	v_sub_f32_e32 v15, v25, v16
	;; [unrolled: 1-line block ×8, first 2 shown]
	v_fma_f32 v23, v24, 2.0, -v17
	v_fma_f32 v22, v8, 2.0, -v16
	;; [unrolled: 1-line block ×8, first 2 shown]
	global_store_dwordx2 v[30:31], v[16:17], off offset:1280
	global_store_dwordx2 v[18:19], v[14:15], off offset:64
	;; [unrolled: 1-line block ×3, first 2 shown]
	global_store_dwordx2 v[2:3], v[22:23], off
	global_store_dwordx2 v[2:3], v[9:10], off offset:832
	global_store_dwordx2 v[32:33], v[0:1], off offset:1664
	global_store_dwordx2 v[4:5], v[20:21], off
	global_store_dwordx2 v[36:37], v[6:7], off offset:1280
.LBB0_17:
	s_endpgm
	.section	.rodata,"a",@progbits
	.p2align	6, 0x0
	.amdhsa_kernel fft_rtc_back_len832_factors_13_2_2_2_2_2_2_wgs_104_tpt_104_halfLds_sp_ip_CI_unitstride_sbrr_dirReg
		.amdhsa_group_segment_fixed_size 0
		.amdhsa_private_segment_fixed_size 0
		.amdhsa_kernarg_size 88
		.amdhsa_user_sgpr_count 6
		.amdhsa_user_sgpr_private_segment_buffer 1
		.amdhsa_user_sgpr_dispatch_ptr 0
		.amdhsa_user_sgpr_queue_ptr 0
		.amdhsa_user_sgpr_kernarg_segment_ptr 1
		.amdhsa_user_sgpr_dispatch_id 0
		.amdhsa_user_sgpr_flat_scratch_init 0
		.amdhsa_user_sgpr_private_segment_size 0
		.amdhsa_wavefront_size32 1
		.amdhsa_uses_dynamic_stack 0
		.amdhsa_system_sgpr_private_segment_wavefront_offset 0
		.amdhsa_system_sgpr_workgroup_id_x 1
		.amdhsa_system_sgpr_workgroup_id_y 0
		.amdhsa_system_sgpr_workgroup_id_z 0
		.amdhsa_system_sgpr_workgroup_info 0
		.amdhsa_system_vgpr_workitem_id 0
		.amdhsa_next_free_vgpr 59
		.amdhsa_next_free_sgpr 21
		.amdhsa_reserve_vcc 1
		.amdhsa_reserve_flat_scratch 0
		.amdhsa_float_round_mode_32 0
		.amdhsa_float_round_mode_16_64 0
		.amdhsa_float_denorm_mode_32 3
		.amdhsa_float_denorm_mode_16_64 3
		.amdhsa_dx10_clamp 1
		.amdhsa_ieee_mode 1
		.amdhsa_fp16_overflow 0
		.amdhsa_workgroup_processor_mode 1
		.amdhsa_memory_ordered 1
		.amdhsa_forward_progress 0
		.amdhsa_shared_vgpr_count 0
		.amdhsa_exception_fp_ieee_invalid_op 0
		.amdhsa_exception_fp_denorm_src 0
		.amdhsa_exception_fp_ieee_div_zero 0
		.amdhsa_exception_fp_ieee_overflow 0
		.amdhsa_exception_fp_ieee_underflow 0
		.amdhsa_exception_fp_ieee_inexact 0
		.amdhsa_exception_int_div_zero 0
	.end_amdhsa_kernel
	.text
.Lfunc_end0:
	.size	fft_rtc_back_len832_factors_13_2_2_2_2_2_2_wgs_104_tpt_104_halfLds_sp_ip_CI_unitstride_sbrr_dirReg, .Lfunc_end0-fft_rtc_back_len832_factors_13_2_2_2_2_2_2_wgs_104_tpt_104_halfLds_sp_ip_CI_unitstride_sbrr_dirReg
                                        ; -- End function
	.section	.AMDGPU.csdata,"",@progbits
; Kernel info:
; codeLenInByte = 8088
; NumSgprs: 23
; NumVgprs: 59
; ScratchSize: 0
; MemoryBound: 0
; FloatMode: 240
; IeeeMode: 1
; LDSByteSize: 0 bytes/workgroup (compile time only)
; SGPRBlocks: 2
; VGPRBlocks: 7
; NumSGPRsForWavesPerEU: 23
; NumVGPRsForWavesPerEU: 59
; Occupancy: 16
; WaveLimiterHint : 1
; COMPUTE_PGM_RSRC2:SCRATCH_EN: 0
; COMPUTE_PGM_RSRC2:USER_SGPR: 6
; COMPUTE_PGM_RSRC2:TRAP_HANDLER: 0
; COMPUTE_PGM_RSRC2:TGID_X_EN: 1
; COMPUTE_PGM_RSRC2:TGID_Y_EN: 0
; COMPUTE_PGM_RSRC2:TGID_Z_EN: 0
; COMPUTE_PGM_RSRC2:TIDIG_COMP_CNT: 0
	.text
	.p2alignl 6, 3214868480
	.fill 48, 4, 3214868480
	.type	__hip_cuid_da1e89818ba1e6e0,@object ; @__hip_cuid_da1e89818ba1e6e0
	.section	.bss,"aw",@nobits
	.globl	__hip_cuid_da1e89818ba1e6e0
__hip_cuid_da1e89818ba1e6e0:
	.byte	0                               ; 0x0
	.size	__hip_cuid_da1e89818ba1e6e0, 1

	.ident	"AMD clang version 19.0.0git (https://github.com/RadeonOpenCompute/llvm-project roc-6.4.0 25133 c7fe45cf4b819c5991fe208aaa96edf142730f1d)"
	.section	".note.GNU-stack","",@progbits
	.addrsig
	.addrsig_sym __hip_cuid_da1e89818ba1e6e0
	.amdgpu_metadata
---
amdhsa.kernels:
  - .args:
      - .actual_access:  read_only
        .address_space:  global
        .offset:         0
        .size:           8
        .value_kind:     global_buffer
      - .offset:         8
        .size:           8
        .value_kind:     by_value
      - .actual_access:  read_only
        .address_space:  global
        .offset:         16
        .size:           8
        .value_kind:     global_buffer
      - .actual_access:  read_only
        .address_space:  global
        .offset:         24
        .size:           8
        .value_kind:     global_buffer
      - .offset:         32
        .size:           8
        .value_kind:     by_value
      - .actual_access:  read_only
        .address_space:  global
        .offset:         40
        .size:           8
        .value_kind:     global_buffer
      - .actual_access:  read_only
        .address_space:  global
        .offset:         48
        .size:           8
        .value_kind:     global_buffer
      - .offset:         56
        .size:           4
        .value_kind:     by_value
      - .actual_access:  read_only
        .address_space:  global
        .offset:         64
        .size:           8
        .value_kind:     global_buffer
      - .actual_access:  read_only
        .address_space:  global
        .offset:         72
        .size:           8
        .value_kind:     global_buffer
      - .address_space:  global
        .offset:         80
        .size:           8
        .value_kind:     global_buffer
    .group_segment_fixed_size: 0
    .kernarg_segment_align: 8
    .kernarg_segment_size: 88
    .language:       OpenCL C
    .language_version:
      - 2
      - 0
    .max_flat_workgroup_size: 104
    .name:           fft_rtc_back_len832_factors_13_2_2_2_2_2_2_wgs_104_tpt_104_halfLds_sp_ip_CI_unitstride_sbrr_dirReg
    .private_segment_fixed_size: 0
    .sgpr_count:     23
    .sgpr_spill_count: 0
    .symbol:         fft_rtc_back_len832_factors_13_2_2_2_2_2_2_wgs_104_tpt_104_halfLds_sp_ip_CI_unitstride_sbrr_dirReg.kd
    .uniform_work_group_size: 1
    .uses_dynamic_stack: false
    .vgpr_count:     59
    .vgpr_spill_count: 0
    .wavefront_size: 32
    .workgroup_processor_mode: 1
amdhsa.target:   amdgcn-amd-amdhsa--gfx1030
amdhsa.version:
  - 1
  - 2
...

	.end_amdgpu_metadata
